;; amdgpu-corpus repo=ROCm/rocFFT kind=compiled arch=gfx1030 opt=O3
	.text
	.amdgcn_target "amdgcn-amd-amdhsa--gfx1030"
	.amdhsa_code_object_version 6
	.protected	bluestein_single_back_len1296_dim1_sp_op_CI_CI ; -- Begin function bluestein_single_back_len1296_dim1_sp_op_CI_CI
	.globl	bluestein_single_back_len1296_dim1_sp_op_CI_CI
	.p2align	8
	.type	bluestein_single_back_len1296_dim1_sp_op_CI_CI,@function
bluestein_single_back_len1296_dim1_sp_op_CI_CI: ; @bluestein_single_back_len1296_dim1_sp_op_CI_CI
; %bb.0:
	s_load_dwordx4 s[16:19], s[4:5], 0x28
	v_mul_u32_u24_e32 v1, 0x25f, v0
	v_mov_b32_e32 v85, 0
	s_mov_b32 s0, exec_lo
	v_lshrrev_b32_e32 v1, 16, v1
	v_add_nc_u32_e32 v84, s6, v1
	s_waitcnt lgkmcnt(0)
	v_cmpx_gt_u64_e64 s[16:17], v[84:85]
	s_cbranch_execz .LBB0_2
; %bb.1:
	s_clause 0x1
	s_load_dwordx4 s[0:3], s[4:5], 0x18
	s_load_dwordx4 s[8:11], s[4:5], 0x0
	v_mul_lo_u16 v1, 0x6c, v1
	v_mov_b32_e32 v34, 3
	s_load_dwordx2 s[4:5], s[4:5], 0x38
	v_sub_nc_u16 v16, v0, v1
	v_and_b32_e32 v103, 0xffff, v16
	v_mul_lo_u16 v35, v16, 6
	v_lshlrev_b32_e32 v97, 3, v103
	v_lshlrev_b32_sdwa v104, v34, v35 dst_sel:DWORD dst_unused:UNUSED_PAD src0_sel:DWORD src1_sel:WORD_0
	s_waitcnt lgkmcnt(0)
	s_load_dwordx4 s[12:15], s[0:1], 0x0
	s_clause 0x2
	global_load_dwordx2 v[60:61], v97, s[8:9]
	global_load_dwordx2 v[62:63], v97, s[8:9] offset:1728
	global_load_dwordx2 v[64:65], v97, s[8:9] offset:864
	v_add_co_u32 v48, s0, s8, v97
	v_add_co_ci_u32_e64 v49, null, s9, 0, s0
	v_add_nc_u32_e32 v102, 0x400, v97
	v_add_nc_u32_e32 v100, 0xc00, v97
	;; [unrolled: 1-line block ×5, first 2 shown]
	s_waitcnt lgkmcnt(0)
	v_mad_u64_u32 v[0:1], null, s14, v84, 0
	v_mad_u64_u32 v[2:3], null, s12, v103, 0
	s_mul_i32 s0, s13, 0x6c0
	s_mul_hi_u32 s1, s12, 0x6c0
	s_mul_i32 s6, s12, 0x6c0
	s_add_i32 s1, s1, s0
	s_mul_i32 s0, s13, 0xffffe1a0
	v_mad_u64_u32 v[4:5], null, s15, v84, v[1:2]
	s_sub_i32 s0, s0, s12
	v_mad_u64_u32 v[5:6], null, s13, v103, v[3:4]
	v_mov_b32_e32 v1, v4
	v_add_co_u32 v6, vcc_lo, 0x800, v48
	v_add_co_ci_u32_e32 v7, vcc_lo, 0, v49, vcc_lo
	v_add_co_u32 v8, vcc_lo, 0x1000, v48
	v_mov_b32_e32 v3, v5
	v_lshlrev_b64 v[0:1], 3, v[0:1]
	v_add_co_ci_u32_e32 v9, vcc_lo, 0, v49, vcc_lo
	v_add_co_u32 v4, vcc_lo, 0x1800, v48
	v_add_co_ci_u32_e32 v5, vcc_lo, 0, v49, vcc_lo
	v_lshlrev_b64 v[2:3], 3, v[2:3]
	v_add_co_u32 v0, vcc_lo, s18, v0
	v_add_co_ci_u32_e32 v1, vcc_lo, s19, v1, vcc_lo
	global_load_dwordx2 v[66:67], v[4:5], off offset:768
	v_add_co_u32 v0, vcc_lo, v0, v2
	v_add_co_ci_u32_e32 v1, vcc_lo, v1, v3, vcc_lo
	v_add_co_u32 v2, vcc_lo, v0, s6
	v_add_co_ci_u32_e32 v3, vcc_lo, s1, v1, vcc_lo
	;; [unrolled: 2-line block ×4, first 2 shown]
	global_load_dwordx2 v[0:1], v[0:1], off
	v_add_co_u32 v14, vcc_lo, v12, s6
	v_add_co_ci_u32_e32 v15, vcc_lo, s1, v13, vcc_lo
	s_clause 0x1
	global_load_dwordx2 v[2:3], v[2:3], off
	global_load_dwordx2 v[12:13], v[12:13], off
	v_add_co_u32 v17, vcc_lo, v14, s6
	v_add_co_ci_u32_e32 v18, vcc_lo, s1, v15, vcc_lo
	s_clause 0x2
	global_load_dwordx2 v[70:71], v[6:7], off offset:1408
	global_load_dwordx2 v[68:69], v[10:11], off offset:448
	global_load_dwordx2 v[72:73], v[6:7], off offset:544
	v_add_co_u32 v19, vcc_lo, v17, s6
	v_add_co_ci_u32_e32 v20, vcc_lo, s1, v18, vcc_lo
	global_load_dwordx2 v[14:15], v[14:15], off
	s_clause 0x1
	global_load_dwordx2 v[74:75], v[8:9], off offset:1088
	global_load_dwordx2 v[76:77], v[8:9], off offset:1952
	global_load_dwordx2 v[22:23], v[17:18], off
	global_load_dwordx2 v[78:79], v[8:9], off offset:224
	v_mad_u64_u32 v[6:7], null, 0xffffe1a0, s12, v[19:20]
	global_load_dwordx2 v[8:9], v[19:20], off
	v_add_nc_u32_e32 v7, s0, v7
	v_add_co_u32 v17, vcc_lo, v6, s6
	v_add_co_ci_u32_e32 v18, vcc_lo, s1, v7, vcc_lo
	v_add_co_u32 v19, vcc_lo, v17, s6
	global_load_dwordx2 v[6:7], v[6:7], off
	v_add_co_ci_u32_e32 v20, vcc_lo, s1, v18, vcc_lo
	global_load_dwordx2 v[24:25], v[17:18], off
	v_add_co_u32 v17, vcc_lo, v19, s6
	v_add_co_ci_u32_e32 v18, vcc_lo, s1, v20, vcc_lo
	global_load_dwordx2 v[26:27], v[19:20], off
	v_add_co_u32 v19, vcc_lo, v17, s6
	;; [unrolled: 3-line block ×3, first 2 shown]
	v_add_co_ci_u32_e32 v18, vcc_lo, s1, v20, vcc_lo
	global_load_dwordx2 v[80:81], v[4:5], off offset:1632
	global_load_dwordx2 v[4:5], v[19:20], off
	global_load_dwordx2 v[82:83], v[10:11], off offset:1312
	global_load_dwordx2 v[10:11], v[17:18], off
	s_load_dwordx4 s[0:3], s[2:3], 0x0
	v_add_co_u32 v17, null, 0x6c, v103
	v_and_b32_e32 v20, 0xff, v16
	v_and_b32_e32 v18, 0xff, v17
	v_mul_lo_u16 v19, 0xab, v20
	v_mul_lo_u16 v20, v20, 57
	;; [unrolled: 1-line block ×4, first 2 shown]
	v_lshrrev_b16 v19, 10, v19
	v_lshrrev_b16 v21, 10, v21
	v_mul_lo_u16 v36, v19, 6
	s_waitcnt lgkmcnt(0)
	s_mul_hi_u32 s6, s0, 0x6c0
	v_mul_lo_u16 v37, v21, 6
	s_waitcnt vmcnt(19)
	v_mul_f32_e32 v30, v1, v61
	v_mul_f32_e32 v31, v0, v61
	s_waitcnt vmcnt(18)
	v_mul_f32_e32 v33, v2, v63
	v_fmac_f32_e32 v30, v0, v60
	v_mul_f32_e32 v32, v3, v63
	v_fma_f32 v31, v1, v60, -v31
	s_waitcnt vmcnt(16)
	v_mul_f32_e32 v0, v13, v71
	v_mul_f32_e32 v38, v12, v71
	v_fma_f32 v33, v3, v62, -v33
	v_fmac_f32_e32 v32, v2, v62
	v_fmac_f32_e32 v0, v12, v70
	v_fma_f32 v1, v13, v70, -v38
	s_waitcnt vmcnt(12)
	v_mul_f32_e32 v3, v14, v75
	v_mul_f32_e32 v2, v15, v75
	s_waitcnt vmcnt(10)
	v_mul_f32_e32 v12, v23, v67
	ds_write_b64 v97, v[32:33] offset:1728
	ds_write_b64 v97, v[0:1] offset:3456
	v_mul_f32_e32 v1, v22, v67
	v_fma_f32 v3, v15, v74, -v3
	s_waitcnt vmcnt(8)
	v_mul_f32_e32 v0, v9, v69
	v_mul_f32_e32 v15, v8, v69
	v_fmac_f32_e32 v2, v14, v74
	v_fmac_f32_e32 v12, v22, v66
	v_fma_f32 v13, v23, v66, -v1
	v_fmac_f32_e32 v0, v8, v68
	v_fma_f32 v1, v9, v68, -v15
	ds_write_b64 v97, v[2:3] offset:5184
	ds_write_b64 v97, v[12:13] offset:6912
	;; [unrolled: 1-line block ×3, first 2 shown]
	v_sub_nc_u16 v23, v17, v37
	v_mul_u32_u24_e32 v32, 6, v17
	s_waitcnt vmcnt(7)
	v_mul_f32_e32 v14, v7, v65
	v_mul_f32_e32 v22, v6, v65
	s_waitcnt vmcnt(6)
	v_mul_f32_e32 v0, v25, v73
	v_mul_f32_e32 v1, v24, v73
	v_fmac_f32_e32 v14, v6, v64
	v_fma_f32 v15, v7, v64, -v22
	v_sub_nc_u16 v22, v16, v36
	s_waitcnt vmcnt(5)
	v_mul_f32_e32 v2, v27, v79
	v_mul_f32_e32 v3, v26, v79
	v_fmac_f32_e32 v0, v24, v72
	v_fma_f32 v1, v25, v72, -v1
	ds_write2_b64 v97, v[30:31], v[14:15] offset1:108
	s_waitcnt vmcnt(4)
	v_mul_f32_e32 v6, v29, v77
	v_mul_f32_e32 v7, v28, v77
	v_fmac_f32_e32 v2, v26, v78
	s_waitcnt vmcnt(2)
	v_mul_f32_e32 v8, v5, v81
	v_mul_f32_e32 v9, v4, v81
	s_waitcnt vmcnt(0)
	v_mul_f32_e32 v12, v11, v83
	v_mul_f32_e32 v13, v10, v83
	v_fma_f32 v3, v27, v78, -v3
	v_fmac_f32_e32 v6, v28, v76
	v_fma_f32 v7, v29, v76, -v7
	v_fmac_f32_e32 v8, v4, v80
	v_fma_f32 v9, v5, v80, -v9
	v_fmac_f32_e32 v12, v10, v82
	v_fma_f32 v13, v11, v82, -v13
	ds_write_b64 v97, v[0:1] offset:2592
	ds_write_b64 v97, v[2:3] offset:4320
	;; [unrolled: 1-line block ×5, first 2 shown]
	s_waitcnt lgkmcnt(0)
	s_barrier
	buffer_gl0_inv
	ds_read2_b64 v[0:3], v97 offset1:108
	ds_read2_b64 v[4:7], v100 offset0:48 offset1:156
	ds_read2_b64 v[8:11], v98 offset0:96 offset1:204
	;; [unrolled: 1-line block ×5, first 2 shown]
	v_and_b32_e32 v22, 0xff, v22
	v_and_b32_e32 v23, 0xff, v23
	v_lshlrev_b32_e32 v105, 3, v32
	s_waitcnt lgkmcnt(0)
	s_barrier
	v_mad_u64_u32 v[32:33], null, v22, 40, s[10:11]
	v_mad_u64_u32 v[34:35], null, v23, 40, s[10:11]
	buffer_gl0_inv
	v_add_f32_e32 v36, v0, v4
	v_add_f32_e32 v37, v4, v8
	v_sub_f32_e32 v40, v4, v8
	v_add_f32_e32 v4, v12, v24
	v_add_f32_e32 v41, v24, v28
	v_sub_f32_e32 v42, v25, v29
	v_add_f32_e32 v43, v13, v25
	v_add_f32_e32 v25, v25, v29
	;; [unrolled: 1-line block ×4, first 2 shown]
	v_sub_f32_e32 v52, v27, v31
	v_add_f32_e32 v53, v15, v27
	v_add_f32_e32 v27, v27, v31
	;; [unrolled: 1-line block ×4, first 2 shown]
	v_sub_f32_e32 v24, v24, v28
	v_add_f32_e32 v50, v14, v26
	v_sub_f32_e32 v54, v26, v30
	v_add_f32_e32 v8, v36, v8
	v_add_f32_e32 v26, v4, v28
	v_fma_f32 v12, -0.5, v41, v12
	v_fma_f32 v13, -0.5, v25, v13
	v_sub_f32_e32 v38, v5, v9
	v_add_f32_e32 v5, v5, v9
	v_sub_f32_e32 v46, v7, v11
	v_add_f32_e32 v47, v3, v7
	v_add_f32_e32 v7, v7, v11
	;; [unrolled: 1-line block ×4, first 2 shown]
	v_fma_f32 v14, -0.5, v51, v14
	v_fmac_f32_e32 v15, -0.5, v27
	v_sub_f32_e32 v6, v6, v10
	v_add_f32_e32 v29, v44, v10
	v_fma_f32 v25, -0.5, v37, v0
	v_fma_f32 v39, -0.5, v45, v2
	v_add_f32_e32 v4, v8, v26
	v_sub_f32_e32 v10, v8, v26
	v_fmamk_f32 v2, v42, 0x3f5db3d7, v12
	v_fmamk_f32 v8, v24, 0xbf5db3d7, v13
	v_fma_f32 v37, -0.5, v5, v1
	v_fmac_f32_e32 v12, 0xbf5db3d7, v42
	v_fmac_f32_e32 v13, 0x3f5db3d7, v24
	v_add_f32_e32 v36, v47, v11
	v_add_f32_e32 v31, v53, v31
	v_fmac_f32_e32 v3, -0.5, v7
	v_add_f32_e32 v5, v9, v28
	v_sub_f32_e32 v11, v9, v28
	v_fmamk_f32 v7, v52, 0x3f5db3d7, v14
	v_fmamk_f32 v9, v54, 0xbf5db3d7, v15
	v_fmac_f32_e32 v15, 0x3f5db3d7, v54
	v_fmac_f32_e32 v14, 0xbf5db3d7, v52
	v_fmamk_f32 v24, v38, 0x3f5db3d7, v25
	v_fmac_f32_e32 v25, 0xbf5db3d7, v38
	v_mul_f32_e32 v38, 0x3f5db3d7, v8
	v_mul_f32_e32 v41, 0xbf5db3d7, v2
	v_fmamk_f32 v28, v40, 0xbf5db3d7, v37
	v_fmac_f32_e32 v37, 0x3f5db3d7, v40
	v_mul_f32_e32 v40, -0.5, v12
	v_mul_f32_e32 v42, -0.5, v13
	v_add_f32_e32 v30, v50, v30
	v_add_f32_e32 v1, v36, v31
	v_sub_f32_e32 v27, v36, v31
	v_mul_f32_e32 v31, -0.5, v15
	v_mul_f32_e32 v43, 0x3f5db3d7, v9
	v_mul_f32_e32 v44, 0xbf5db3d7, v7
	v_mul_f32_e32 v36, -0.5, v14
	v_fmac_f32_e32 v38, 0.5, v2
	v_fmac_f32_e32 v41, 0.5, v8
	v_fmac_f32_e32 v40, 0x3f5db3d7, v13
	v_fmac_f32_e32 v42, 0xbf5db3d7, v12
	v_add_f32_e32 v0, v29, v30
	v_sub_f32_e32 v26, v29, v30
	v_fmamk_f32 v29, v6, 0xbf5db3d7, v3
	v_fmac_f32_e32 v3, 0x3f5db3d7, v6
	v_fmamk_f32 v30, v46, 0x3f5db3d7, v39
	v_fmac_f32_e32 v31, 0xbf5db3d7, v14
	v_fmac_f32_e32 v43, 0.5, v7
	v_fmac_f32_e32 v44, 0.5, v9
	v_fmac_f32_e32 v39, 0xbf5db3d7, v46
	v_fmac_f32_e32 v36, 0x3f5db3d7, v15
	v_add_f32_e32 v6, v24, v38
	v_add_f32_e32 v7, v28, v41
	;; [unrolled: 1-line block ×4, first 2 shown]
	v_sub_f32_e32 v12, v24, v38
	v_sub_f32_e32 v14, v25, v40
	;; [unrolled: 1-line block ×4, first 2 shown]
	v_add_f32_e32 v25, v3, v31
	v_sub_f32_e32 v31, v3, v31
	v_add_f32_e32 v2, v30, v43
	v_add_f32_e32 v3, v29, v44
	;; [unrolled: 1-line block ×3, first 2 shown]
	v_sub_f32_e32 v28, v30, v43
	v_sub_f32_e32 v30, v39, v36
	;; [unrolled: 1-line block ×3, first 2 shown]
	ds_write_b128 v104, v[4:7]
	ds_write_b128 v104, v[8:11] offset:16
	ds_write_b128 v104, v[12:15] offset:32
	ds_write_b128 v105, v[0:3]
	ds_write_b128 v105, v[24:27] offset:16
	ds_write_b128 v105, v[28:31] offset:32
	s_waitcnt lgkmcnt(0)
	s_barrier
	buffer_gl0_inv
	s_clause 0x5
	global_load_dwordx4 v[8:11], v[32:33], off
	global_load_dwordx4 v[4:7], v[34:35], off
	global_load_dwordx4 v[0:3], v[32:33], off offset:16
	global_load_dwordx4 v[12:15], v[34:35], off offset:16
	global_load_dwordx2 v[87:88], v[32:33], off offset:32
	global_load_dwordx2 v[85:86], v[34:35], off offset:32
	v_lshrrev_b16 v47, 11, v20
	v_lshrrev_b16 v32, 11, v18
	v_mov_b32_e32 v20, 36
	ds_read2_b64 v[24:27], v102 offset0:88 offset1:196
	v_mul_lo_u16 v18, v47, 36
	v_mul_lo_u16 v28, v32, 36
	v_mul_u32_u24_sdwa v29, v19, v20 dst_sel:DWORD dst_unused:UNUSED_PAD src0_sel:WORD_0 src1_sel:DWORD
	v_mul_u32_u24_sdwa v20, v21, v20 dst_sel:DWORD dst_unused:UNUSED_PAD src0_sel:WORD_0 src1_sel:DWORD
	v_sub_nc_u16 v30, v16, v18
	v_sub_nc_u16 v28, v17, v28
	ds_read2_b64 v[16:19], v100 offset0:48 offset1:156
	v_add_lshl_u32 v106, v29, v22, 3
	v_add_lshl_u32 v107, v20, v23, 3
	v_and_b32_e32 v33, 0xff, v30
	v_and_b32_e32 v34, 0xff, v28
	ds_read2_b64 v[28:31], v101 offset0:136 offset1:244
	ds_read2_b64 v[20:23], v98 offset0:96 offset1:204
	;; [unrolled: 1-line block ×3, first 2 shown]
	ds_read2_b64 v[39:42], v97 offset1:108
	v_mad_u64_u32 v[43:44], null, v33, 40, s[10:11]
	v_mad_u64_u32 v[45:46], null, v34, 40, s[10:11]
	s_waitcnt vmcnt(0) lgkmcnt(0)
	s_barrier
	buffer_gl0_inv
	v_mul_f32_e32 v53, v16, v11
	v_mul_f32_e32 v56, v19, v7
	;; [unrolled: 1-line block ×20, first 2 shown]
	v_fmac_f32_e32 v53, v17, v10
	v_fma_f32 v17, v18, v6, -v56
	v_fma_f32 v18, v28, v0, -v58
	v_fmac_f32_e32 v59, v29, v0
	v_fmac_f32_e32 v92, v21, v2
	v_fma_f32 v21, v22, v14, -v93
	v_fma_f32 v22, v35, v87, -v95
	v_fmac_f32_e32 v96, v36, v87
	v_fma_f32 v24, v24, v8, -v50
	v_fmac_f32_e32 v51, v25, v8
	;; [unrolled: 2-line block ×7, first 2 shown]
	v_add_f32_e32 v31, v59, v96
	v_add_f32_e32 v37, v18, v22
	v_add_f32_e32 v26, v39, v16
	v_add_f32_e32 v27, v16, v20
	v_sub_f32_e32 v28, v16, v20
	v_add_f32_e32 v16, v40, v53
	v_sub_f32_e32 v29, v53, v92
	v_add_f32_e32 v30, v53, v92
	v_add_f32_e32 v35, v51, v59
	;; [unrolled: 1-line block ×5, first 2 shown]
	v_sub_f32_e32 v38, v18, v22
	v_sub_f32_e32 v50, v59, v96
	v_add_f32_e32 v52, v42, v57
	v_add_f32_e32 v54, v25, v19
	v_add_f32_e32 v58, v55, v90
	v_sub_f32_e32 v59, v17, v21
	v_sub_f32_e32 v89, v19, v23
	v_add_f32_e32 v19, v17, v21
	v_add_f32_e32 v17, v41, v17
	v_fmac_f32_e32 v51, -0.5, v31
	v_fmac_f32_e32 v24, -0.5, v37
	v_sub_f32_e32 v90, v90, v109
	v_add_f32_e32 v20, v26, v20
	v_add_f32_e32 v26, v16, v92
	;; [unrolled: 1-line block ×4, first 2 shown]
	v_fma_f32 v36, -0.5, v30, v40
	v_fmac_f32_e32 v25, -0.5, v53
	v_fmac_f32_e32 v55, -0.5, v56
	v_add_f32_e32 v18, v57, v94
	v_fma_f32 v35, -0.5, v27, v39
	v_fma_f32 v37, -0.5, v19, v41
	v_add_f32_e32 v27, v17, v21
	v_add_f32_e32 v23, v54, v23
	;; [unrolled: 1-line block ×4, first 2 shown]
	v_fmamk_f32 v40, v38, 0xbf5db3d7, v51
	v_fmamk_f32 v41, v50, 0x3f5db3d7, v24
	v_fmac_f32_e32 v24, 0xbf5db3d7, v50
	v_fmac_f32_e32 v51, 0x3f5db3d7, v38
	v_sub_f32_e32 v57, v57, v94
	v_add_f32_e32 v17, v26, v31
	v_fmamk_f32 v53, v28, 0xbf5db3d7, v36
	v_sub_f32_e32 v19, v26, v31
	v_fmac_f32_e32 v36, 0x3f5db3d7, v28
	v_fmamk_f32 v26, v89, 0xbf5db3d7, v55
	v_fmac_f32_e32 v55, 0x3f5db3d7, v89
	v_fmamk_f32 v28, v90, 0x3f5db3d7, v25
	v_fmac_f32_e32 v25, 0xbf5db3d7, v90
	v_fmac_f32_e32 v42, -0.5, v18
	v_add_f32_e32 v16, v20, v22
	v_fmamk_f32 v52, v29, 0x3f5db3d7, v35
	v_sub_f32_e32 v18, v20, v22
	v_fmac_f32_e32 v35, 0xbf5db3d7, v29
	v_add_f32_e32 v20, v27, v23
	v_add_f32_e32 v21, v39, v30
	v_sub_f32_e32 v22, v27, v23
	v_sub_f32_e32 v23, v39, v30
	v_mul_f32_e32 v29, 0x3f5db3d7, v40
	v_mul_f32_e32 v30, 0xbf5db3d7, v41
	v_mul_f32_e32 v31, -0.5, v24
	v_mul_f32_e32 v38, -0.5, v51
	v_fmamk_f32 v54, v57, 0x3f5db3d7, v37
	v_fmac_f32_e32 v37, 0xbf5db3d7, v57
	v_mul_f32_e32 v39, -0.5, v55
	v_mul_f32_e32 v57, 0x3f5db3d7, v26
	v_mul_f32_e32 v58, 0xbf5db3d7, v28
	v_mul_f32_e32 v56, -0.5, v25
	v_fmac_f32_e32 v29, 0.5, v41
	v_fmac_f32_e32 v30, 0.5, v40
	v_fmac_f32_e32 v31, 0x3f5db3d7, v51
	v_fmac_f32_e32 v38, 0xbf5db3d7, v24
	v_fmamk_f32 v50, v59, 0xbf5db3d7, v42
	v_fmac_f32_e32 v42, 0x3f5db3d7, v59
	v_fmac_f32_e32 v39, 0xbf5db3d7, v25
	v_fmac_f32_e32 v57, 0.5, v28
	v_fmac_f32_e32 v58, 0.5, v26
	v_fmac_f32_e32 v56, 0x3f5db3d7, v55
	v_add_f32_e32 v24, v52, v29
	v_add_f32_e32 v25, v53, v30
	;; [unrolled: 1-line block ×4, first 2 shown]
	v_sub_f32_e32 v28, v52, v29
	v_sub_f32_e32 v29, v53, v30
	;; [unrolled: 1-line block ×4, first 2 shown]
	v_add_f32_e32 v36, v42, v39
	v_sub_f32_e32 v38, v42, v39
	v_add_f32_e32 v39, v54, v57
	v_add_f32_e32 v40, v50, v58
	;; [unrolled: 1-line block ×3, first 2 shown]
	v_sub_f32_e32 v37, v37, v56
	v_sub_f32_e32 v41, v54, v57
	;; [unrolled: 1-line block ×3, first 2 shown]
	ds_write2_b64 v106, v[16:17], v[24:25] offset1:6
	ds_write2_b64 v106, v[26:27], v[18:19] offset0:12 offset1:18
	ds_write2_b64 v106, v[28:29], v[30:31] offset0:24 offset1:30
	ds_write2_b64 v107, v[20:21], v[39:40] offset1:6
	ds_write2_b64 v107, v[35:36], v[22:23] offset0:12 offset1:18
	ds_write2_b64 v107, v[41:42], v[37:38] offset0:24 offset1:30
	s_waitcnt lgkmcnt(0)
	s_barrier
	buffer_gl0_inv
	s_clause 0x5
	global_load_dwordx4 v[20:23], v[43:44], off offset:240
	global_load_dwordx4 v[16:19], v[45:46], off offset:240
	;; [unrolled: 1-line block ×4, first 2 shown]
	global_load_dwordx2 v[91:92], v[43:44], off offset:272
	global_load_dwordx2 v[89:90], v[45:46], off offset:272
	v_mov_b32_e32 v43, 0xd8
	ds_read2_b64 v[35:38], v102 offset0:88 offset1:196
	ds_read2_b64 v[39:42], v100 offset0:48 offset1:156
	;; [unrolled: 1-line block ×3, first 2 shown]
	v_mad_u64_u32 v[58:59], null, v103, 40, s[10:11]
	v_mul_u32_u24_sdwa v47, v47, v43 dst_sel:DWORD dst_unused:UNUSED_PAD src0_sel:WORD_0 src1_sel:DWORD
	v_mul_u32_u24_sdwa v32, v32, v43 dst_sel:DWORD dst_unused:UNUSED_PAD src0_sel:WORD_0 src1_sel:DWORD
	ds_read2_b64 v[43:46], v101 offset0:136 offset1:244
	ds_read2_b64 v[54:57], v99 offset0:56 offset1:164
	ds_read2_b64 v[93:96], v97 offset1:108
	s_waitcnt vmcnt(0) lgkmcnt(0)
	v_add_lshl_u32 v109, v47, v33, 3
	v_add_lshl_u32 v108, v32, v34, 3
	v_add_co_u32 v110, vcc_lo, 0x1000, v58
	v_add_co_ci_u32_e32 v111, vcc_lo, 0, v59, vcc_lo
	s_barrier
	buffer_gl0_inv
	v_mul_f32_e32 v32, v36, v21
	v_mul_f32_e32 v112, v37, v17
	;; [unrolled: 1-line block ×20, first 2 shown]
	v_fma_f32 v128, v35, v20, -v32
	v_fmac_f32_e32 v112, v38, v16
	v_fma_f32 v32, v39, v22, -v34
	v_fma_f32 v34, v43, v24, -v116
	v_fmac_f32_e32 v117, v44, v24
	v_fma_f32 v38, v54, v91, -v124
	v_fmac_f32_e32 v125, v55, v91
	v_fmac_f32_e32 v47, v36, v20
	;; [unrolled: 1-line block ×3, first 2 shown]
	v_fma_f32 v35, v45, v28, -v118
	v_fmac_f32_e32 v119, v46, v28
	v_fma_f32 v36, v50, v26, -v120
	v_fmac_f32_e32 v121, v51, v26
	;; [unrolled: 2-line block ×3, first 2 shown]
	v_fma_f32 v129, v37, v16, -v33
	v_fma_f32 v33, v41, v18, -v114
	v_fmac_f32_e32 v115, v42, v18
	v_fma_f32 v37, v52, v30, -v122
	v_fmac_f32_e32 v123, v53, v30
	v_add_f32_e32 v45, v117, v125
	v_add_f32_e32 v51, v34, v38
	;; [unrolled: 1-line block ×4, first 2 shown]
	v_sub_f32_e32 v42, v32, v36
	v_add_f32_e32 v32, v94, v113
	v_sub_f32_e32 v43, v113, v121
	v_add_f32_e32 v44, v113, v121
	v_add_f32_e32 v46, v47, v117
	;; [unrolled: 1-line block ×5, first 2 shown]
	v_sub_f32_e32 v52, v34, v38
	v_sub_f32_e32 v53, v117, v125
	v_add_f32_e32 v34, v95, v33
	v_add_f32_e32 v54, v33, v37
	v_sub_f32_e32 v55, v33, v37
	v_add_f32_e32 v33, v96, v115
	v_add_f32_e32 v56, v115, v123
	;; [unrolled: 3-line block ×3, first 2 shown]
	v_fmac_f32_e32 v47, -0.5, v45
	v_fmac_f32_e32 v128, -0.5, v51
	v_sub_f32_e32 v117, v35, v39
	v_sub_f32_e32 v118, v119, v127
	v_add_f32_e32 v35, v40, v36
	v_add_f32_e32 v36, v32, v121
	v_add_f32_e32 v38, v50, v38
	v_add_f32_e32 v40, v46, v125
	v_fma_f32 v51, -0.5, v44, v94
	v_fmac_f32_e32 v112, -0.5, v113
	v_fmac_f32_e32 v129, -0.5, v116
	v_add_f32_e32 v45, v34, v37
	v_add_f32_e32 v46, v33, v123
	v_fma_f32 v50, -0.5, v41, v93
	v_fmac_f32_e32 v96, -0.5, v56
	v_add_f32_e32 v39, v115, v39
	v_add_f32_e32 v41, v114, v127
	v_fmamk_f32 v44, v52, 0xbf5db3d7, v47
	v_fmamk_f32 v56, v53, 0x3f5db3d7, v128
	v_fmac_f32_e32 v128, 0xbf5db3d7, v53
	v_fmac_f32_e32 v47, 0x3f5db3d7, v52
	v_fma_f32 v54, -0.5, v54, v95
	v_add_f32_e32 v32, v35, v38
	v_add_f32_e32 v33, v36, v40
	v_sub_f32_e32 v34, v35, v38
	v_sub_f32_e32 v35, v36, v40
	v_fmamk_f32 v94, v42, 0xbf5db3d7, v51
	v_fmac_f32_e32 v51, 0x3f5db3d7, v42
	v_fmamk_f32 v40, v117, 0xbf5db3d7, v112
	v_fmamk_f32 v42, v118, 0x3f5db3d7, v129
	v_fmac_f32_e32 v129, 0xbf5db3d7, v118
	v_fmac_f32_e32 v112, 0x3f5db3d7, v117
	v_add_f32_e32 v36, v45, v39
	v_add_f32_e32 v37, v46, v41
	v_sub_f32_e32 v38, v45, v39
	v_sub_f32_e32 v39, v46, v41
	v_mul_f32_e32 v45, 0x3f5db3d7, v44
	v_mul_f32_e32 v46, 0xbf5db3d7, v56
	v_mul_f32_e32 v52, -0.5, v128
	v_mul_f32_e32 v53, -0.5, v47
	v_fmamk_f32 v95, v57, 0x3f5db3d7, v54
	v_fmac_f32_e32 v54, 0xbf5db3d7, v57
	v_mul_f32_e32 v57, 0x3f5db3d7, v40
	v_mul_f32_e32 v114, 0xbf5db3d7, v42
	v_fmamk_f32 v113, v55, 0xbf5db3d7, v96
	v_fmac_f32_e32 v96, 0x3f5db3d7, v55
	v_mul_f32_e32 v115, -0.5, v129
	v_mul_f32_e32 v55, -0.5, v112
	v_fmamk_f32 v93, v43, 0x3f5db3d7, v50
	v_fmac_f32_e32 v45, 0.5, v56
	v_fmac_f32_e32 v46, 0.5, v44
	v_fmac_f32_e32 v50, 0xbf5db3d7, v43
	v_fmac_f32_e32 v52, 0x3f5db3d7, v47
	;; [unrolled: 1-line block ×3, first 2 shown]
	v_fmac_f32_e32 v57, 0.5, v42
	v_fmac_f32_e32 v114, 0.5, v40
	v_fmac_f32_e32 v115, 0x3f5db3d7, v112
	v_fmac_f32_e32 v55, 0xbf5db3d7, v129
	v_add_f32_e32 v40, v93, v45
	v_add_f32_e32 v41, v94, v46
	;; [unrolled: 1-line block ×4, first 2 shown]
	v_sub_f32_e32 v44, v93, v45
	v_sub_f32_e32 v45, v94, v46
	;; [unrolled: 1-line block ×4, first 2 shown]
	v_add_f32_e32 v50, v95, v57
	v_add_f32_e32 v51, v113, v114
	;; [unrolled: 1-line block ×4, first 2 shown]
	v_sub_f32_e32 v55, v96, v55
	v_sub_f32_e32 v54, v54, v115
	;; [unrolled: 1-line block ×4, first 2 shown]
	ds_write2_b64 v109, v[32:33], v[40:41] offset1:36
	ds_write2_b64 v109, v[42:43], v[34:35] offset0:72 offset1:108
	ds_write2_b64 v109, v[44:45], v[46:47] offset0:144 offset1:180
	ds_write2_b64 v108, v[36:37], v[50:51] offset1:36
	ds_write2_b64 v108, v[52:53], v[38:39] offset0:72 offset1:108
	ds_write2_b64 v108, v[56:57], v[54:55] offset0:144 offset1:180
	v_add_co_u32 v50, vcc_lo, 0x1770, v58
	s_waitcnt lgkmcnt(0)
	s_barrier
	buffer_gl0_inv
	s_clause 0x1
	global_load_dwordx4 v[32:35], v[58:59], off offset:1680
	global_load_dwordx4 v[36:39], v[110:111], off offset:1904
	v_add_co_ci_u32_e32 v51, vcc_lo, 0, v59, vcc_lo
	s_clause 0x3
	global_load_dwordx4 v[40:43], v[58:59], off offset:1696
	global_load_dwordx4 v[44:47], v[50:51], off offset:16
	global_load_dwordx2 v[95:96], v[58:59], off offset:1712
	global_load_dwordx2 v[93:94], v[50:51], off offset:32
	ds_read2_b64 v[50:53], v102 offset0:88 offset1:196
	ds_read2_b64 v[54:57], v100 offset0:48 offset1:156
	;; [unrolled: 1-line block ×5, first 2 shown]
	ds_read2_b64 v[122:125], v97 offset1:108
	v_add_co_u32 v58, vcc_lo, 0x2800, v48
	v_add_co_ci_u32_e32 v59, vcc_lo, 0, v49, vcc_lo
	s_waitcnt vmcnt(5) lgkmcnt(4)
	v_mul_f32_e32 v130, v55, v35
	s_waitcnt vmcnt(4)
	v_mul_f32_e32 v128, v53, v37
	v_mul_f32_e32 v133, v56, v39
	;; [unrolled: 1-line block ×6, first 2 shown]
	s_waitcnt vmcnt(3) lgkmcnt(3)
	v_mul_f32_e32 v135, v110, v41
	s_waitcnt vmcnt(2)
	v_mul_f32_e32 v136, v113, v45
	v_mul_f32_e32 v137, v112, v45
	v_fma_f32 v128, v52, v36, -v128
	s_waitcnt lgkmcnt(2)
	v_mul_f32_e32 v52, v116, v47
	v_fma_f32 v54, v54, v34, -v130
	v_fmac_f32_e32 v133, v57, v38
	s_waitcnt vmcnt(0) lgkmcnt(1)
	v_mul_f32_e32 v57, v120, v94
	v_mul_f32_e32 v130, v121, v94
	;; [unrolled: 1-line block ×5, first 2 shown]
	v_fmac_f32_e32 v127, v51, v32
	v_fmac_f32_e32 v129, v53, v36
	v_mul_f32_e32 v51, v117, v47
	v_mul_f32_e32 v53, v119, v96
	v_fmac_f32_e32 v131, v55, v34
	v_fma_f32 v55, v56, v38, -v132
	v_mul_f32_e32 v56, v118, v96
	v_fmac_f32_e32 v135, v111, v40
	v_fma_f32 v111, v112, v44, -v136
	v_fmac_f32_e32 v137, v113, v44
	v_fmac_f32_e32 v57, v121, v93
	;; [unrolled: 1-line block ×3, first 2 shown]
	v_fma_f32 v113, v120, v93, -v130
	v_fma_f32 v126, v50, v32, -v126
	v_mul_f32_e32 v50, v114, v43
	v_fma_f32 v110, v110, v40, -v134
	v_fma_f32 v112, v114, v42, -v138
	;; [unrolled: 1-line block ×4, first 2 shown]
	v_fmac_f32_e32 v56, v119, v95
	v_add_f32_e32 v114, v137, v57
	v_add_f32_e32 v116, v133, v52
	;; [unrolled: 1-line block ×3, first 2 shown]
	v_fmac_f32_e32 v50, v115, v42
	v_add_f32_e32 v115, v129, v137
	s_waitcnt lgkmcnt(0)
	v_add_f32_e32 v117, v125, v133
	v_add_f32_e32 v119, v128, v111
	v_sub_f32_e32 v120, v55, v51
	v_sub_f32_e32 v121, v137, v57
	v_add_f32_e32 v130, v124, v55
	v_add_f32_e32 v55, v55, v51
	;; [unrolled: 1-line block ×5, first 2 shown]
	v_fmac_f32_e32 v129, -0.5, v114
	v_add_f32_e32 v114, v127, v135
	v_fmac_f32_e32 v125, -0.5, v116
	v_add_f32_e32 v116, v110, v53
	;; [unrolled: 2-line block ×3, first 2 shown]
	v_sub_f32_e32 v111, v111, v113
	v_add_f32_e32 v132, v54, v112
	v_sub_f32_e32 v110, v110, v53
	v_sub_f32_e32 v139, v54, v112
	;; [unrolled: 1-line block ×3, first 2 shown]
	v_fma_f32 v124, -0.5, v55, v124
	v_add_f32_e32 v54, v136, v112
	v_add_f32_e32 v55, v137, v50
	;; [unrolled: 1-line block ×6, first 2 shown]
	v_fmac_f32_e32 v127, -0.5, v118
	v_fmac_f32_e32 v126, -0.5, v116
	v_add_f32_e32 v134, v131, v50
	v_sub_f32_e32 v131, v131, v50
	v_sub_f32_e32 v133, v133, v52
	v_add_f32_e32 v114, v117, v52
	v_add_f32_e32 v50, v54, v53
	;; [unrolled: 1-line block ×3, first 2 shown]
	v_sub_f32_e32 v52, v54, v53
	v_sub_f32_e32 v53, v55, v56
	v_add_f32_e32 v54, v112, v113
	v_sub_f32_e32 v56, v112, v113
	v_fmamk_f32 v112, v110, 0xbf5db3d7, v127
	v_fmamk_f32 v113, v135, 0x3f5db3d7, v126
	v_add_f32_e32 v57, v115, v57
	v_fmamk_f32 v115, v111, 0xbf5db3d7, v129
	v_fmac_f32_e32 v129, 0x3f5db3d7, v111
	v_fmac_f32_e32 v126, 0xbf5db3d7, v135
	;; [unrolled: 1-line block ×3, first 2 shown]
	v_fmamk_f32 v111, v121, 0x3f5db3d7, v128
	v_fmac_f32_e32 v128, 0xbf5db3d7, v121
	v_fma_f32 v122, -0.5, v132, v122
	v_fma_f32 v123, -0.5, v134, v123
	ds_write_b64 v97, v[52:53] offset:5184
	v_mul_f32_e32 v52, 0x3f5db3d7, v112
	v_mul_f32_e32 v118, 0xbf5db3d7, v113
	v_fmamk_f32 v130, v120, 0xbf5db3d7, v125
	v_fmac_f32_e32 v125, 0x3f5db3d7, v120
	v_mul_f32_e32 v117, -0.5, v129
	v_mul_f32_e32 v119, -0.5, v126
	;; [unrolled: 1-line block ×3, first 2 shown]
	v_fmamk_f32 v110, v133, 0x3f5db3d7, v124
	v_fmac_f32_e32 v124, 0xbf5db3d7, v133
	v_mul_f32_e32 v133, -0.5, v128
	v_add_f32_e32 v55, v114, v57
	v_sub_f32_e32 v57, v114, v57
	v_fmamk_f32 v114, v131, 0x3f5db3d7, v122
	v_fmamk_f32 v116, v139, 0xbf5db3d7, v123
	v_fmac_f32_e32 v122, 0xbf5db3d7, v131
	v_mul_f32_e32 v131, 0x3f5db3d7, v115
	v_mul_f32_e32 v132, 0xbf5db3d7, v111
	v_fmac_f32_e32 v52, 0.5, v113
	v_fmac_f32_e32 v118, 0.5, v112
	v_fmac_f32_e32 v123, 0x3f5db3d7, v139
	v_fmac_f32_e32 v117, 0xbf5db3d7, v128
	;; [unrolled: 1-line block ×5, first 2 shown]
	v_fmac_f32_e32 v131, 0.5, v111
	v_fmac_f32_e32 v132, 0.5, v115
	v_add_f32_e32 v112, v114, v52
	v_add_f32_e32 v113, v116, v118
	v_add_f32_e32 v53, v125, v117
	v_sub_f32_e32 v111, v125, v117
	v_sub_f32_e32 v115, v116, v118
	v_add_f32_e32 v116, v122, v119
	v_add_f32_e32 v117, v123, v120
	v_sub_f32_e32 v114, v114, v52
	v_sub_f32_e32 v118, v122, v119
	;; [unrolled: 1-line block ×3, first 2 shown]
	v_add_f32_e32 v52, v124, v133
	v_add_f32_e32 v120, v110, v131
	;; [unrolled: 1-line block ×3, first 2 shown]
	v_sub_f32_e32 v122, v110, v131
	v_sub_f32_e32 v123, v130, v132
	;; [unrolled: 1-line block ×3, first 2 shown]
	ds_write_b64 v97, v[112:113] offset:1728
	ds_write_b64 v97, v[116:117] offset:3456
	;; [unrolled: 1-line block ×4, first 2 shown]
	ds_write2_b64 v97, v[50:51], v[54:55] offset1:108
	ds_write_b64 v97, v[120:121] offset:2592
	ds_write_b64 v97, v[52:53] offset:4320
	;; [unrolled: 1-line block ×5, first 2 shown]
	s_waitcnt lgkmcnt(0)
	s_barrier
	buffer_gl0_inv
	global_load_dwordx2 v[52:53], v[58:59], off offset:128
	v_add_co_u32 v50, vcc_lo, 0x2880, v48
	v_add_co_ci_u32_e32 v51, vcc_lo, 0, v49, vcc_lo
	v_add_co_u32 v54, vcc_lo, 0x3000, v48
	v_add_co_ci_u32_e32 v55, vcc_lo, 0, v49, vcc_lo
	s_clause 0x3
	global_load_dwordx2 v[110:111], v[50:51], off offset:864
	global_load_dwordx2 v[114:115], v[54:55], off offset:672
	;; [unrolled: 1-line block ×4, first 2 shown]
	v_add_co_u32 v50, vcc_lo, 0x3800, v48
	v_add_co_ci_u32_e32 v51, vcc_lo, 0, v49, vcc_lo
	v_add_co_u32 v54, vcc_lo, 0x4000, v48
	v_add_co_ci_u32_e32 v55, vcc_lo, 0, v49, vcc_lo
	s_clause 0x3
	global_load_dwordx2 v[118:119], v[50:51], off offset:352
	global_load_dwordx2 v[120:121], v[50:51], off offset:1216
	;; [unrolled: 1-line block ×4, first 2 shown]
	v_add_co_u32 v48, vcc_lo, 0x4800, v48
	v_add_co_ci_u32_e32 v49, vcc_lo, 0, v49, vcc_lo
	s_clause 0x2
	global_load_dwordx2 v[126:127], v[54:55], off offset:1760
	global_load_dwordx2 v[128:129], v[48:49], off offset:576
	;; [unrolled: 1-line block ×3, first 2 shown]
	ds_read2_b64 v[48:51], v97 offset1:108
	s_waitcnt vmcnt(11) lgkmcnt(0)
	v_mul_f32_e32 v55, v49, v53
	v_mul_f32_e32 v54, v48, v53
	v_fma_f32 v53, v48, v52, -v55
	v_fmac_f32_e32 v54, v49, v52
	s_waitcnt vmcnt(10)
	v_mul_f32_e32 v48, v51, v111
	v_mul_f32_e32 v133, v50, v111
	ds_write_b64 v97, v[53:54]
	ds_read2_b64 v[52:55], v102 offset0:88 offset1:196
	ds_read2_b64 v[56:59], v100 offset0:48 offset1:156
	v_fma_f32 v132, v50, v110, -v48
	v_fmac_f32_e32 v133, v51, v110
	ds_read2_b64 v[48:51], v101 offset0:136 offset1:244
	s_waitcnt vmcnt(8) lgkmcnt(2)
	v_mul_f32_e32 v110, v53, v113
	v_mul_f32_e32 v135, v52, v113
	;; [unrolled: 1-line block ×4, first 2 shown]
	s_waitcnt vmcnt(7) lgkmcnt(1)
	v_mul_f32_e32 v138, v57, v117
	v_fma_f32 v134, v52, v112, -v110
	v_fmac_f32_e32 v135, v53, v112
	ds_read2_b64 v[110:113], v98 offset0:96 offset1:204
	v_fma_f32 v136, v54, v114, -v136
	v_fmac_f32_e32 v137, v55, v114
	ds_read2_b64 v[52:55], v99 offset0:56 offset1:164
	v_mul_f32_e32 v115, v56, v117
	v_fma_f32 v114, v56, v116, -v138
	s_waitcnt vmcnt(6)
	v_mul_f32_e32 v56, v59, v119
	s_waitcnt vmcnt(4) lgkmcnt(2)
	v_mul_f32_e32 v117, v50, v123
	v_add_nc_u32_e32 v138, 0x800, v97
	v_fmac_f32_e32 v115, v57, v116
	v_mul_f32_e32 v57, v58, v119
	v_fma_f32 v56, v58, v118, -v56
	v_mul_f32_e32 v58, v49, v121
	v_mul_f32_e32 v116, v51, v123
	v_fmac_f32_e32 v117, v51, v122
	v_fmac_f32_e32 v57, v59, v118
	v_mul_f32_e32 v59, v48, v121
	v_fma_f32 v58, v48, v120, -v58
	v_fma_f32 v116, v50, v122, -v116
	v_add_nc_u32_e32 v121, 0x1400, v97
	s_waitcnt vmcnt(3) lgkmcnt(1)
	v_mul_f32_e32 v48, v111, v125
	v_fmac_f32_e32 v59, v49, v120
	v_mul_f32_e32 v49, v110, v125
	s_waitcnt vmcnt(2)
	v_mul_f32_e32 v50, v113, v127
	v_mul_f32_e32 v51, v112, v127
	s_waitcnt vmcnt(1) lgkmcnt(0)
	v_mul_f32_e32 v118, v53, v129
	v_mul_f32_e32 v119, v52, v129
	v_fma_f32 v48, v110, v124, -v48
	v_fmac_f32_e32 v49, v111, v124
	s_waitcnt vmcnt(0)
	v_mul_f32_e32 v110, v55, v131
	v_mul_f32_e32 v111, v54, v131
	v_add_nc_u32_e32 v120, 0x1c00, v97
	v_fma_f32 v50, v112, v126, -v50
	v_fmac_f32_e32 v51, v113, v126
	v_fma_f32 v118, v52, v128, -v118
	v_fmac_f32_e32 v119, v53, v128
	v_fma_f32 v110, v54, v130, -v110
	v_fmac_f32_e32 v111, v55, v130
	ds_write2_b64 v138, v[136:137], v[114:115] offset0:68 offset1:176
	ds_write2_b64 v121, v[116:117], v[48:49] offset0:116 offset1:224
	;; [unrolled: 1-line block ×5, first 2 shown]
	ds_write_b64 v97, v[110:111] offset:9504
	s_waitcnt lgkmcnt(0)
	s_barrier
	buffer_gl0_inv
	ds_read2_b64 v[48:51], v97 offset1:108
	ds_read2_b64 v[56:59], v100 offset0:48 offset1:156
	ds_read2_b64 v[52:55], v98 offset0:96 offset1:204
	;; [unrolled: 1-line block ×5, first 2 shown]
	v_mad_u64_u32 v[122:123], null, s2, v84, 0
	s_waitcnt lgkmcnt(0)
	s_barrier
	buffer_gl0_inv
	s_mul_i32 s2, s0, 0x6c0
	v_mad_u64_u32 v[123:124], null, s3, v84, v[123:124]
	s_mul_i32 s3, s1, 0x6c0
	s_add_i32 s3, s6, s3
	v_add_f32_e32 v84, v48, v56
	v_add_f32_e32 v124, v56, v52
	v_sub_f32_e32 v128, v56, v52
	v_add_f32_e32 v56, v50, v58
	v_add_f32_e32 v126, v51, v59
	v_sub_f32_e32 v130, v59, v55
	v_add_f32_e32 v131, v59, v55
	v_add_f32_e32 v59, v111, v115
	;; [unrolled: 1-line block ×4, first 2 shown]
	v_sub_f32_e32 v132, v58, v54
	v_add_f32_e32 v58, v110, v114
	v_sub_f32_e32 v133, v110, v114
	v_sub_f32_e32 v134, v111, v115
	v_add_f32_e32 v110, v118, v110
	v_add_f32_e32 v111, v119, v111
	;; [unrolled: 1-line block ×5, first 2 shown]
	v_fma_f32 v119, -0.5, v59, v119
	v_add_f32_e32 v127, v57, v53
	v_sub_f32_e32 v57, v57, v53
	v_add_f32_e32 v84, v84, v52
	v_add_f32_e32 v125, v125, v53
	;; [unrolled: 1-line block ×4, first 2 shown]
	v_sub_f32_e32 v112, v112, v116
	v_add_f32_e32 v110, v110, v114
	v_add_f32_e32 v114, v135, v116
	v_fma_f32 v135, -0.5, v58, v118
	v_fma_f32 v48, -0.5, v124, v48
	v_fmac_f32_e32 v121, -0.5, v56
	v_fmamk_f32 v137, v133, 0x3f5db3d7, v119
	v_fmac_f32_e32 v119, 0xbf5db3d7, v133
	v_add_f32_e32 v111, v111, v115
	v_add_f32_e32 v55, v126, v55
	;; [unrolled: 1-line block ×3, first 2 shown]
	v_fma_f32 v136, -0.5, v52, v120
	v_fmamk_f32 v138, v134, 0xbf5db3d7, v135
	v_add_f32_e32 v52, v84, v110
	v_sub_f32_e32 v58, v84, v110
	v_fmamk_f32 v84, v112, 0x3f5db3d7, v121
	v_fmac_f32_e32 v121, 0xbf5db3d7, v112
	v_fmamk_f32 v112, v57, 0xbf5db3d7, v48
	v_fmac_f32_e32 v48, 0x3f5db3d7, v57
	v_fmac_f32_e32 v135, 0x3f5db3d7, v134
	v_mul_f32_e32 v57, 0xbf5db3d7, v119
	v_add_f32_e32 v53, v125, v111
	v_sub_f32_e32 v59, v125, v111
	v_mad_u64_u32 v[124:125], null, s0, v103, 0
	v_sub_f32_e32 v113, v113, v117
	v_add_f32_e32 v111, v55, v115
	v_sub_f32_e32 v117, v55, v115
	v_mul_f32_e32 v55, 0xbf5db3d7, v137
	v_fmac_f32_e32 v57, -0.5, v135
	v_add_f32_e32 v110, v54, v114
	v_sub_f32_e32 v116, v54, v114
	v_mul_f32_e32 v114, -0.5, v119
	v_fmac_f32_e32 v55, 0.5, v138
	v_add_f32_e32 v56, v48, v57
	v_sub_f32_e32 v120, v48, v57
	v_mov_b32_e32 v48, v125
	v_fmac_f32_e32 v51, -0.5, v131
	v_add_f32_e32 v54, v112, v55
	v_sub_f32_e32 v118, v112, v55
	v_mul_f32_e32 v112, 0.5, v137
	v_mad_u64_u32 v[125:126], null, s1, v103, v[48:49]
	v_fma_f32 v48, -0.5, v127, v49
	v_fmamk_f32 v55, v113, 0xbf5db3d7, v136
	v_fma_f32 v50, -0.5, v129, v50
	v_mul_f32_e32 v126, 0xbf5db3d7, v84
	v_mul_f32_e32 v84, 0.5, v84
	v_mul_f32_e32 v133, 0xbf5db3d7, v121
	v_mul_f32_e32 v134, -0.5, v121
	v_fmac_f32_e32 v136, 0x3f5db3d7, v113
	v_fmamk_f32 v49, v128, 0x3f5db3d7, v48
	v_fmac_f32_e32 v112, 0x3f5db3d7, v138
	v_fmac_f32_e32 v48, 0xbf5db3d7, v128
	v_fmac_f32_e32 v114, 0x3f5db3d7, v135
	v_fmamk_f32 v103, v132, 0x3f5db3d7, v51
	v_fmamk_f32 v113, v130, 0xbf5db3d7, v50
	v_fmac_f32_e32 v126, 0.5, v55
	v_fmac_f32_e32 v84, 0x3f5db3d7, v55
	v_fmac_f32_e32 v51, 0xbf5db3d7, v132
	;; [unrolled: 1-line block ×4, first 2 shown]
	v_fmac_f32_e32 v133, -0.5, v136
	v_add_f32_e32 v55, v49, v112
	v_add_f32_e32 v57, v48, v114
	v_sub_f32_e32 v119, v49, v112
	v_sub_f32_e32 v121, v48, v114
	v_add_f32_e32 v112, v113, v126
	v_sub_f32_e32 v48, v113, v126
	v_add_f32_e32 v113, v103, v84
	v_add_f32_e32 v115, v51, v134
	v_sub_f32_e32 v51, v51, v134
	v_add_f32_e32 v114, v50, v133
	v_sub_f32_e32 v50, v50, v133
	v_sub_f32_e32 v49, v103, v84
	ds_write_b128 v104, v[52:55]
	ds_write_b128 v104, v[56:59] offset:16
	ds_write_b128 v104, v[118:121] offset:32
	ds_write_b128 v105, v[110:113]
	ds_write_b128 v105, v[114:117] offset:16
	ds_write_b128 v105, v[48:51] offset:32
	s_waitcnt lgkmcnt(0)
	s_barrier
	buffer_gl0_inv
	ds_read2_b64 v[48:51], v102 offset0:88 offset1:196
	ds_read2_b64 v[52:55], v100 offset0:48 offset1:156
	;; [unrolled: 1-line block ×5, first 2 shown]
	ds_read2_b64 v[118:121], v97 offset1:108
	v_lshlrev_b64 v[103:104], 3, v[122:123]
	v_lshlrev_b64 v[122:123], 3, v[124:125]
	s_waitcnt lgkmcnt(0)
	s_barrier
	buffer_gl0_inv
	s_mulk_i32 s1, 0xe1a0
	v_add_co_u32 v84, vcc_lo, s4, v103
	v_add_co_ci_u32_e32 v103, vcc_lo, s5, v104, vcc_lo
	v_mul_f32_e32 v104, v9, v49
	v_mul_f32_e32 v9, v9, v48
	;; [unrolled: 1-line block ×18, first 2 shown]
	v_fmac_f32_e32 v104, v8, v48
	v_fma_f32 v8, v8, v49, -v9
	v_fma_f32 v9, v10, v53, -v11
	v_mul_f32_e32 v11, v86, v116
	v_fma_f32 v48, v4, v51, -v5
	v_fmac_f32_e32 v126, v0, v56
	v_fma_f32 v0, v0, v57, -v1
	v_fma_f32 v5, v87, v115, -v88
	v_fmac_f32_e32 v105, v10, v52
	v_mul_f32_e32 v10, v86, v117
	v_fmac_f32_e32 v124, v4, v50
	v_fmac_f32_e32 v125, v6, v54
	v_fma_f32 v4, v6, v55, -v7
	v_fmac_f32_e32 v127, v2, v110
	v_fma_f32 v1, v2, v111, -v3
	v_fma_f32 v2, v12, v59, -v13
	;; [unrolled: 1-line block ×4, first 2 shown]
	v_fmac_f32_e32 v130, v87, v114
	v_add_f32_e32 v15, v0, v5
	v_fmac_f32_e32 v128, v12, v58
	v_fmac_f32_e32 v129, v14, v112
	;; [unrolled: 1-line block ×3, first 2 shown]
	v_add_f32_e32 v13, v119, v9
	v_sub_f32_e32 v14, v9, v1
	v_add_f32_e32 v9, v9, v1
	v_add_f32_e32 v49, v8, v0
	;; [unrolled: 1-line block ×4, first 2 shown]
	v_sub_f32_e32 v58, v4, v3
	v_add_f32_e32 v4, v2, v6
	v_add_f32_e32 v7, v118, v105
	;; [unrolled: 1-line block ×5, first 2 shown]
	v_sub_f32_e32 v52, v126, v130
	v_add_f32_e32 v59, v48, v2
	v_fmac_f32_e32 v8, -0.5, v15
	v_sub_f32_e32 v12, v105, v127
	v_sub_f32_e32 v53, v0, v5
	v_add_f32_e32 v54, v125, v129
	v_add_f32_e32 v86, v128, v10
	v_sub_f32_e32 v87, v128, v10
	v_add_f32_e32 v5, v49, v5
	v_fma_f32 v49, -0.5, v9, v119
	v_fmac_f32_e32 v48, -0.5, v4
	v_sub_f32_e32 v88, v2, v6
	v_add_f32_e32 v2, v7, v127
	v_add_f32_e32 v7, v13, v1
	;; [unrolled: 1-line block ×3, first 2 shown]
	v_fmac_f32_e32 v104, -0.5, v51
	v_fma_f32 v15, -0.5, v11, v118
	v_add_f32_e32 v11, v56, v3
	v_add_f32_e32 v50, v59, v6
	v_fmamk_f32 v51, v52, 0x3f5db3d7, v8
	v_fmac_f32_e32 v8, 0xbf5db3d7, v52
	v_add_f32_e32 v0, v120, v125
	v_sub_f32_e32 v55, v125, v129
	v_add_f32_e32 v85, v124, v128
	v_fmac_f32_e32 v121, -0.5, v57
	v_fmac_f32_e32 v124, -0.5, v86
	v_fma_f32 v54, -0.5, v54, v120
	v_fmamk_f32 v59, v12, 0x3f5db3d7, v49
	v_fmac_f32_e32 v49, 0xbf5db3d7, v12
	v_fmamk_f32 v12, v87, 0x3f5db3d7, v48
	v_fmac_f32_e32 v48, 0xbf5db3d7, v87
	v_fmamk_f32 v56, v53, 0xbf5db3d7, v104
	v_add_f32_e32 v1, v7, v5
	v_fmamk_f32 v57, v14, 0xbf5db3d7, v15
	v_sub_f32_e32 v3, v7, v5
	v_fmac_f32_e32 v15, 0x3f5db3d7, v14
	v_add_f32_e32 v5, v11, v50
	v_sub_f32_e32 v7, v11, v50
	v_mul_f32_e32 v14, 0xbf5db3d7, v51
	v_mul_f32_e32 v50, 0.5, v51
	v_fmac_f32_e32 v104, 0x3f5db3d7, v53
	v_mul_f32_e32 v51, 0xbf5db3d7, v8
	v_mul_f32_e32 v52, -0.5, v8
	v_add_f32_e32 v9, v0, v129
	v_add_f32_e32 v10, v85, v10
	;; [unrolled: 1-line block ×3, first 2 shown]
	v_sub_f32_e32 v2, v2, v13
	v_fmamk_f32 v13, v88, 0xbf5db3d7, v124
	v_fmamk_f32 v85, v58, 0xbf5db3d7, v54
	;; [unrolled: 1-line block ×3, first 2 shown]
	v_fmac_f32_e32 v54, 0x3f5db3d7, v58
	v_fmac_f32_e32 v121, 0xbf5db3d7, v55
	v_mul_f32_e32 v55, 0xbf5db3d7, v12
	v_mul_f32_e32 v58, 0.5, v12
	v_fmac_f32_e32 v124, 0x3f5db3d7, v88
	v_mul_f32_e32 v87, 0xbf5db3d7, v48
	v_mul_f32_e32 v53, -0.5, v48
	v_fmac_f32_e32 v14, 0.5, v56
	v_fmac_f32_e32 v50, 0x3f5db3d7, v56
	v_fmac_f32_e32 v51, -0.5, v104
	v_fmac_f32_e32 v52, 0x3f5db3d7, v104
	v_fmac_f32_e32 v55, 0.5, v13
	v_fmac_f32_e32 v58, 0x3f5db3d7, v13
	v_fmac_f32_e32 v87, -0.5, v124
	v_fmac_f32_e32 v53, 0x3f5db3d7, v124
	v_add_f32_e32 v4, v9, v10
	v_sub_f32_e32 v6, v9, v10
	v_add_f32_e32 v8, v57, v14
	v_add_f32_e32 v9, v59, v50
	;; [unrolled: 1-line block ×4, first 2 shown]
	v_sub_f32_e32 v12, v57, v14
	v_sub_f32_e32 v13, v59, v50
	;; [unrolled: 1-line block ×4, first 2 shown]
	v_add_f32_e32 v48, v85, v55
	v_add_f32_e32 v49, v86, v58
	;; [unrolled: 1-line block ×4, first 2 shown]
	v_sub_f32_e32 v53, v121, v53
	v_sub_f32_e32 v52, v54, v87
	;; [unrolled: 1-line block ×4, first 2 shown]
	ds_write2_b64 v106, v[0:1], v[8:9] offset1:6
	ds_write2_b64 v106, v[10:11], v[2:3] offset0:12 offset1:18
	ds_write2_b64 v106, v[12:13], v[14:15] offset0:24 offset1:30
	ds_write2_b64 v107, v[4:5], v[48:49] offset1:6
	ds_write2_b64 v107, v[50:51], v[6:7] offset0:12 offset1:18
	ds_write2_b64 v107, v[54:55], v[52:53] offset0:24 offset1:30
	s_waitcnt lgkmcnt(0)
	s_barrier
	buffer_gl0_inv
	ds_read2_b64 v[6:9], v102 offset0:88 offset1:196
	ds_read2_b64 v[10:13], v100 offset0:48 offset1:156
	;; [unrolled: 1-line block ×3, first 2 shown]
	v_add_co_u32 v0, vcc_lo, v84, v122
	ds_read2_b64 v[52:55], v98 offset0:96 offset1:204
	ds_read2_b64 v[56:59], v99 offset0:56 offset1:164
	ds_read2_b64 v[84:87], v97 offset1:108
	v_add_co_ci_u32_e32 v1, vcc_lo, v103, v123, vcc_lo
	s_waitcnt lgkmcnt(0)
	s_barrier
	buffer_gl0_inv
	v_add_co_u32 v2, vcc_lo, v0, s2
	v_add_co_ci_u32_e32 v3, vcc_lo, s3, v1, vcc_lo
	v_add_co_u32 v4, vcc_lo, v2, s2
	v_add_co_ci_u32_e32 v5, vcc_lo, s3, v3, vcc_lo
	v_mul_f32_e32 v88, v17, v9
	v_mul_f32_e32 v103, v19, v13
	;; [unrolled: 1-line block ×19, first 2 shown]
	v_fmac_f32_e32 v88, v16, v8
	v_fmac_f32_e32 v103, v18, v12
	v_fma_f32 v8, v24, v49, -v25
	v_fma_f32 v12, v91, v57, -v92
	v_mul_f32_e32 v27, v27, v52
	v_fmac_f32_e32 v14, v20, v6
	v_fma_f32 v15, v20, v7, -v15
	v_fmac_f32_e32 v21, v22, v10
	v_fma_f32 v6, v22, v11, -v23
	v_fma_f32 v7, v18, v13, -v19
	;; [unrolled: 1-line block ×5, first 2 shown]
	v_fmac_f32_e32 v104, v24, v48
	v_fmac_f32_e32 v105, v26, v52
	;; [unrolled: 1-line block ×3, first 2 shown]
	v_add_f32_e32 v22, v8, v12
	v_fma_f32 v16, v16, v9, -v17
	v_fma_f32 v9, v26, v53, -v27
	v_fmac_f32_e32 v106, v28, v50
	v_fmac_f32_e32 v107, v30, v54
	;; [unrolled: 1-line block ×3, first 2 shown]
	v_add_f32_e32 v23, v15, v8
	v_sub_f32_e32 v27, v8, v12
	v_add_f32_e32 v8, v7, v11
	v_add_f32_e32 v31, v10, v13
	;; [unrolled: 1-line block ×7, first 2 shown]
	v_sub_f32_e32 v26, v104, v110
	v_add_f32_e32 v28, v87, v7
	v_fmac_f32_e32 v15, -0.5, v22
	v_add_f32_e32 v48, v16, v10
	v_add_f32_e32 v29, v106, v111
	v_sub_f32_e32 v49, v103, v107
	v_sub_f32_e32 v50, v106, v111
	v_add_f32_e32 v51, v103, v107
	v_fmac_f32_e32 v87, -0.5, v8
	v_fmac_f32_e32 v16, -0.5, v31
	v_sub_f32_e32 v19, v21, v105
	v_sub_f32_e32 v21, v6, v9
	v_add_f32_e32 v6, v6, v9
	v_add_f32_e32 v30, v88, v106
	;; [unrolled: 1-line block ×5, first 2 shown]
	v_fmac_f32_e32 v14, -0.5, v25
	v_fma_f32 v18, -0.5, v18, v84
	v_add_f32_e32 v24, v28, v11
	v_fmamk_f32 v28, v26, 0x3f5db3d7, v15
	v_sub_f32_e32 v10, v10, v13
	v_add_f32_e32 v13, v48, v13
	v_fmac_f32_e32 v15, 0xbf5db3d7, v26
	v_fmac_f32_e32 v88, -0.5, v29
	v_fma_f32 v29, -0.5, v51, v86
	v_fmamk_f32 v51, v49, 0x3f5db3d7, v87
	v_fmac_f32_e32 v87, 0xbf5db3d7, v49
	v_fmamk_f32 v49, v50, 0x3f5db3d7, v16
	v_fmac_f32_e32 v16, 0xbf5db3d7, v50
	v_fma_f32 v25, -0.5, v6, v85
	v_add_f32_e32 v12, v23, v12
	v_add_f32_e32 v23, v30, v111
	v_fmamk_f32 v30, v27, 0xbf5db3d7, v14
	v_add_f32_e32 v6, v17, v20
	v_fmamk_f32 v31, v21, 0xbf5db3d7, v18
	v_sub_f32_e32 v8, v17, v20
	v_fmac_f32_e32 v18, 0x3f5db3d7, v21
	v_mul_f32_e32 v20, 0xbf5db3d7, v28
	v_mul_f32_e32 v21, 0.5, v28
	v_add_f32_e32 v52, v86, v103
	v_sub_f32_e32 v53, v7, v11
	v_add_f32_e32 v11, v24, v13
	v_sub_f32_e32 v13, v24, v13
	v_fmac_f32_e32 v14, 0x3f5db3d7, v27
	v_mul_f32_e32 v24, 0xbf5db3d7, v15
	v_mul_f32_e32 v26, -0.5, v15
	v_fmamk_f32 v50, v10, 0xbf5db3d7, v88
	v_fmac_f32_e32 v88, 0x3f5db3d7, v10
	v_mul_f32_e32 v27, 0xbf5db3d7, v16
	v_mul_f32_e32 v28, 0xbf5db3d7, v49
	v_mul_f32_e32 v49, 0.5, v49
	v_fmamk_f32 v48, v19, 0x3f5db3d7, v25
	v_fmac_f32_e32 v25, 0xbf5db3d7, v19
	v_mul_f32_e32 v19, -0.5, v16
	v_fmac_f32_e32 v20, 0.5, v30
	v_fmac_f32_e32 v21, 0x3f5db3d7, v30
	v_add_f32_e32 v22, v52, v107
	v_fmac_f32_e32 v24, -0.5, v14
	v_fmac_f32_e32 v26, 0x3f5db3d7, v14
	v_fmamk_f32 v52, v53, 0xbf5db3d7, v29
	v_fmac_f32_e32 v29, 0x3f5db3d7, v53
	v_fmac_f32_e32 v27, -0.5, v88
	v_fmac_f32_e32 v28, 0.5, v50
	v_fmac_f32_e32 v49, 0x3f5db3d7, v50
	v_fmac_f32_e32 v19, 0x3f5db3d7, v88
	v_add_f32_e32 v7, v9, v12
	v_add_f32_e32 v14, v31, v20
	;; [unrolled: 1-line block ×3, first 2 shown]
	v_sub_f32_e32 v9, v9, v12
	v_add_f32_e32 v10, v22, v23
	v_sub_f32_e32 v12, v22, v23
	v_add_f32_e32 v22, v18, v24
	v_add_f32_e32 v23, v25, v26
	v_sub_f32_e32 v20, v31, v20
	v_sub_f32_e32 v21, v48, v21
	;; [unrolled: 1-line block ×4, first 2 shown]
	v_add_f32_e32 v16, v29, v27
	v_sub_f32_e32 v18, v29, v27
	v_add_f32_e32 v26, v52, v28
	v_add_f32_e32 v27, v51, v49
	;; [unrolled: 1-line block ×3, first 2 shown]
	v_sub_f32_e32 v19, v87, v19
	v_sub_f32_e32 v28, v52, v28
	;; [unrolled: 1-line block ×3, first 2 shown]
	ds_write2_b64 v109, v[6:7], v[14:15] offset1:36
	ds_write2_b64 v109, v[22:23], v[8:9] offset0:72 offset1:108
	ds_write2_b64 v109, v[20:21], v[24:25] offset0:144 offset1:180
	ds_write2_b64 v108, v[10:11], v[26:27] offset1:36
	ds_write2_b64 v108, v[16:17], v[12:13] offset0:72 offset1:108
	ds_write2_b64 v108, v[28:29], v[18:19] offset0:144 offset1:180
	s_waitcnt lgkmcnt(0)
	s_barrier
	buffer_gl0_inv
	ds_read2_b64 v[12:15], v102 offset0:88 offset1:196
	ds_read2_b64 v[16:19], v100 offset0:48 offset1:156
	;; [unrolled: 1-line block ×5, first 2 shown]
	ds_read2_b64 v[48:51], v97 offset1:108
	v_add_co_u32 v6, vcc_lo, v4, s2
	v_add_co_ci_u32_e32 v7, vcc_lo, s3, v5, vcc_lo
	v_add_co_u32 v8, vcc_lo, v6, s2
	v_add_co_ci_u32_e32 v9, vcc_lo, s3, v7, vcc_lo
	;; [unrolled: 2-line block ×3, first 2 shown]
	s_waitcnt lgkmcnt(5)
	v_mul_f32_e32 v54, v33, v13
	v_mul_f32_e32 v33, v33, v12
	s_waitcnt lgkmcnt(4)
	v_mul_f32_e32 v55, v35, v17
	v_mul_f32_e32 v35, v35, v16
	;; [unrolled: 1-line block ×5, first 2 shown]
	s_waitcnt lgkmcnt(3)
	v_mul_f32_e32 v58, v41, v21
	v_mul_f32_e32 v41, v41, v20
	s_waitcnt lgkmcnt(2)
	v_mul_f32_e32 v59, v43, v25
	v_mul_f32_e32 v43, v43, v24
	;; [unrolled: 3-line block ×3, first 2 shown]
	v_mul_f32_e32 v39, v39, v18
	v_mul_f32_e32 v84, v45, v23
	;; [unrolled: 1-line block ×6, first 2 shown]
	v_fmac_f32_e32 v54, v32, v12
	v_fma_f32 v32, v32, v13, -v33
	v_fma_f32 v12, v34, v17, -v35
	v_fmac_f32_e32 v56, v36, v14
	v_fma_f32 v33, v36, v15, -v37
	v_fmac_f32_e32 v57, v38, v18
	v_fmac_f32_e32 v58, v40, v20
	v_fma_f32 v14, v40, v21, -v41
	v_fma_f32 v15, v42, v25, -v43
	v_fmac_f32_e32 v86, v95, v28
	v_fma_f32 v18, v95, v29, -v87
	v_mul_f32_e32 v88, v94, v31
	v_fmac_f32_e32 v55, v34, v16
	v_fma_f32 v13, v38, v19, -v39
	v_fmac_f32_e32 v59, v42, v24
	v_fmac_f32_e32 v84, v44, v22
	v_fma_f32 v16, v44, v23, -v45
	v_fmac_f32_e32 v85, v46, v26
	v_fma_f32 v17, v46, v27, -v47
	v_fma_f32 v19, v93, v31, -v89
	v_sub_f32_e32 v22, v12, v15
	s_waitcnt lgkmcnt(0)
	v_add_f32_e32 v23, v49, v12
	v_add_f32_e32 v12, v12, v15
	;; [unrolled: 1-line block ×3, first 2 shown]
	v_sub_f32_e32 v27, v14, v18
	v_add_f32_e32 v28, v32, v14
	v_add_f32_e32 v14, v14, v18
	v_fmac_f32_e32 v88, v93, v30
	v_add_f32_e32 v20, v48, v55
	v_add_f32_e32 v21, v55, v59
	v_sub_f32_e32 v24, v55, v59
	v_add_f32_e32 v25, v54, v58
	v_sub_f32_e32 v29, v58, v86
	v_add_f32_e32 v30, v50, v57
	v_add_f32_e32 v37, v56, v84
	v_sub_f32_e32 v39, v16, v19
	v_add_f32_e32 v40, v33, v16
	v_add_f32_e32 v16, v16, v19
	v_fmac_f32_e32 v54, -0.5, v26
	v_fmac_f32_e32 v32, -0.5, v14
	v_fma_f32 v26, -0.5, v12, v49
	v_add_f32_e32 v35, v51, v13
	v_add_f32_e32 v31, v57, v85
	v_sub_f32_e32 v34, v13, v17
	v_add_f32_e32 v13, v13, v17
	v_add_f32_e32 v38, v84, v88
	v_sub_f32_e32 v41, v84, v88
	v_add_f32_e32 v20, v20, v59
	v_add_f32_e32 v15, v23, v15
	;; [unrolled: 1-line block ×3, first 2 shown]
	v_fma_f32 v25, -0.5, v21, v48
	v_add_f32_e32 v21, v30, v85
	v_add_f32_e32 v30, v37, v88
	v_fmac_f32_e32 v33, -0.5, v16
	v_fmamk_f32 v37, v24, 0x3f5db3d7, v26
	v_fmac_f32_e32 v26, 0xbf5db3d7, v24
	v_fmamk_f32 v24, v29, 0x3f5db3d7, v32
	v_add_f32_e32 v18, v28, v18
	v_add_f32_e32 v28, v35, v17
	;; [unrolled: 1-line block ×3, first 2 shown]
	v_fmac_f32_e32 v32, 0xbf5db3d7, v29
	v_sub_f32_e32 v36, v57, v85
	v_fma_f32 v31, -0.5, v31, v50
	v_fmac_f32_e32 v51, -0.5, v13
	v_fmac_f32_e32 v56, -0.5, v38
	v_fmamk_f32 v35, v22, 0xbf5db3d7, v25
	v_fmac_f32_e32 v25, 0x3f5db3d7, v22
	v_fmamk_f32 v22, v27, 0xbf5db3d7, v54
	v_fmac_f32_e32 v54, 0x3f5db3d7, v27
	v_add_f32_e32 v12, v20, v23
	v_sub_f32_e32 v14, v20, v23
	v_fmamk_f32 v23, v41, 0x3f5db3d7, v33
	v_fmac_f32_e32 v33, 0xbf5db3d7, v41
	v_mul_f32_e32 v27, 0xbf5db3d7, v24
	v_mul_f32_e32 v29, 0.5, v24
	v_add_f32_e32 v13, v15, v18
	v_sub_f32_e32 v15, v15, v18
	v_add_f32_e32 v16, v21, v30
	v_add_f32_e32 v17, v28, v19
	v_sub_f32_e32 v18, v21, v30
	v_sub_f32_e32 v19, v28, v19
	v_mul_f32_e32 v28, 0xbf5db3d7, v32
	v_mul_f32_e32 v30, -0.5, v32
	v_fmamk_f32 v38, v34, 0xbf5db3d7, v31
	v_fmac_f32_e32 v31, 0x3f5db3d7, v34
	v_fmamk_f32 v34, v36, 0x3f5db3d7, v51
	v_fmac_f32_e32 v51, 0xbf5db3d7, v36
	;; [unrolled: 2-line block ×3, first 2 shown]
	v_mul_f32_e32 v32, 0xbf5db3d7, v23
	v_mul_f32_e32 v36, 0xbf5db3d7, v33
	v_mul_f32_e32 v39, 0.5, v23
	v_mul_f32_e32 v33, -0.5, v33
	v_fmac_f32_e32 v27, 0.5, v22
	v_fmac_f32_e32 v29, 0x3f5db3d7, v22
	v_fmac_f32_e32 v28, -0.5, v54
	v_fmac_f32_e32 v30, 0x3f5db3d7, v54
	ds_write_b64 v97, v[14:15] offset:5184
	v_fmac_f32_e32 v32, 0.5, v20
	v_fmac_f32_e32 v36, -0.5, v56
	v_fmac_f32_e32 v39, 0x3f5db3d7, v20
	v_fmac_f32_e32 v33, 0x3f5db3d7, v56
	v_add_f32_e32 v14, v35, v27
	v_add_f32_e32 v15, v37, v29
	;; [unrolled: 1-line block ×4, first 2 shown]
	v_sub_f32_e32 v22, v35, v27
	v_sub_f32_e32 v23, v37, v29
	;; [unrolled: 1-line block ×4, first 2 shown]
	v_add_f32_e32 v26, v38, v32
	v_add_f32_e32 v28, v31, v36
	;; [unrolled: 1-line block ×4, first 2 shown]
	v_sub_f32_e32 v30, v38, v32
	v_sub_f32_e32 v32, v31, v36
	;; [unrolled: 1-line block ×4, first 2 shown]
	ds_write_b64 v97, v[14:15] offset:1728
	ds_write_b64 v97, v[20:21] offset:3456
	;; [unrolled: 1-line block ×4, first 2 shown]
	ds_write2_b64 v97, v[12:13], v[16:17] offset1:108
	ds_write_b64 v97, v[26:27] offset:2592
	ds_write_b64 v97, v[28:29] offset:4320
	;; [unrolled: 1-line block ×5, first 2 shown]
	s_waitcnt lgkmcnt(0)
	s_barrier
	buffer_gl0_inv
	ds_read2_b64 v[12:15], v97 offset1:108
	ds_read2_b64 v[16:19], v102 offset0:88 offset1:196
	ds_read2_b64 v[20:23], v100 offset0:48 offset1:156
	ds_read2_b64 v[24:27], v101 offset0:136 offset1:244
	ds_read2_b64 v[28:31], v98 offset0:96 offset1:204
	ds_read2_b64 v[32:35], v99 offset0:56 offset1:164
	v_mad_u64_u32 v[52:53], null, 0xffffe1a0, s0, v[10:11]
	s_sub_i32 s0, s1, s0
	v_add_nc_u32_e32 v53, s0, v53
	s_mov_b32 s0, 0xfcd6e9e0
	s_mov_b32 s1, 0x3f4948b0
	v_add_co_u32 v36, vcc_lo, v52, s2
	v_add_co_ci_u32_e32 v37, vcc_lo, s3, v53, vcc_lo
	s_waitcnt lgkmcnt(5)
	v_mul_f32_e32 v40, v61, v13
	v_mul_f32_e32 v41, v61, v12
	s_waitcnt lgkmcnt(4)
	v_mul_f32_e32 v42, v63, v17
	v_mul_f32_e32 v43, v63, v16
	;; [unrolled: 3-line block ×5, first 2 shown]
	v_mul_f32_e32 v48, v65, v15
	v_mul_f32_e32 v49, v65, v14
	s_waitcnt lgkmcnt(0)
	v_mul_f32_e32 v54, v69, v33
	v_mul_f32_e32 v55, v69, v32
	v_fmac_f32_e32 v40, v60, v12
	v_fma_f32 v41, v60, v13, -v41
	v_mul_f32_e32 v56, v73, v19
	v_mul_f32_e32 v57, v73, v18
	v_fmac_f32_e32 v42, v62, v16
	v_fma_f32 v43, v62, v17, -v43
	;; [unrolled: 4-line block ×6, first 2 shown]
	v_fmac_f32_e32 v54, v68, v32
	v_fma_f32 v55, v68, v33, -v55
	v_cvt_f64_f32_e32 v[12:13], v40
	v_cvt_f64_f32_e32 v[14:15], v41
	v_fmac_f32_e32 v56, v72, v18
	v_fma_f32 v57, v72, v19, -v57
	v_cvt_f64_f32_e32 v[16:17], v42
	v_cvt_f64_f32_e32 v[18:19], v43
	v_fmac_f32_e32 v58, v78, v22
	v_fma_f32 v59, v78, v23, -v59
	v_cvt_f64_f32_e32 v[20:21], v44
	v_cvt_f64_f32_e32 v[22:23], v45
	v_fmac_f32_e32 v61, v76, v26
	v_fma_f32 v60, v76, v27, -v63
	v_cvt_f64_f32_e32 v[24:25], v46
	v_cvt_f64_f32_e32 v[26:27], v47
	v_fmac_f32_e32 v65, v80, v30
	v_fma_f32 v62, v80, v31, -v67
	v_cvt_f64_f32_e32 v[28:29], v50
	v_cvt_f64_f32_e32 v[30:31], v51
	v_fmac_f32_e32 v69, v82, v34
	v_fma_f32 v64, v82, v35, -v71
	v_cvt_f64_f32_e32 v[32:33], v54
	v_cvt_f64_f32_e32 v[34:35], v55
	v_cvt_f64_f32_e32 v[40:41], v48
	v_cvt_f64_f32_e32 v[42:43], v49
	;; [unrolled: 1-line block ×12, first 2 shown]
	v_mul_f64 v[12:13], v[12:13], s[0:1]
	v_mul_f64 v[14:15], v[14:15], s[0:1]
	;; [unrolled: 1-line block ×24, first 2 shown]
	v_cvt_f32_f64_e32 v12, v[12:13]
	v_cvt_f32_f64_e32 v13, v[14:15]
	;; [unrolled: 1-line block ×10, first 2 shown]
	v_add_co_u32 v38, vcc_lo, v36, s2
	v_cvt_f32_f64_e32 v22, v[32:33]
	v_cvt_f32_f64_e32 v23, v[34:35]
	;; [unrolled: 1-line block ×4, first 2 shown]
	v_add_co_ci_u32_e32 v39, vcc_lo, s3, v37, vcc_lo
	v_cvt_f32_f64_e32 v26, v[44:45]
	v_cvt_f32_f64_e32 v27, v[46:47]
	;; [unrolled: 1-line block ×8, first 2 shown]
	v_add_co_u32 v40, vcc_lo, v38, s2
	v_cvt_f32_f64_e32 v34, v[62:63]
	v_cvt_f32_f64_e32 v35, v[64:65]
	v_add_co_ci_u32_e32 v41, vcc_lo, s3, v39, vcc_lo
	v_add_co_u32 v42, vcc_lo, v40, s2
	v_add_co_ci_u32_e32 v43, vcc_lo, s3, v41, vcc_lo
	v_add_co_u32 v44, vcc_lo, v42, s2
	v_add_co_ci_u32_e32 v45, vcc_lo, s3, v43, vcc_lo
	global_store_dwordx2 v[0:1], v[12:13], off
	global_store_dwordx2 v[2:3], v[14:15], off
	;; [unrolled: 1-line block ×12, first 2 shown]
.LBB0_2:
	s_endpgm
	.section	.rodata,"a",@progbits
	.p2align	6, 0x0
	.amdhsa_kernel bluestein_single_back_len1296_dim1_sp_op_CI_CI
		.amdhsa_group_segment_fixed_size 10368
		.amdhsa_private_segment_fixed_size 0
		.amdhsa_kernarg_size 104
		.amdhsa_user_sgpr_count 6
		.amdhsa_user_sgpr_private_segment_buffer 1
		.amdhsa_user_sgpr_dispatch_ptr 0
		.amdhsa_user_sgpr_queue_ptr 0
		.amdhsa_user_sgpr_kernarg_segment_ptr 1
		.amdhsa_user_sgpr_dispatch_id 0
		.amdhsa_user_sgpr_flat_scratch_init 0
		.amdhsa_user_sgpr_private_segment_size 0
		.amdhsa_wavefront_size32 1
		.amdhsa_uses_dynamic_stack 0
		.amdhsa_system_sgpr_private_segment_wavefront_offset 0
		.amdhsa_system_sgpr_workgroup_id_x 1
		.amdhsa_system_sgpr_workgroup_id_y 0
		.amdhsa_system_sgpr_workgroup_id_z 0
		.amdhsa_system_sgpr_workgroup_info 0
		.amdhsa_system_vgpr_workitem_id 0
		.amdhsa_next_free_vgpr 140
		.amdhsa_next_free_sgpr 20
		.amdhsa_reserve_vcc 1
		.amdhsa_reserve_flat_scratch 0
		.amdhsa_float_round_mode_32 0
		.amdhsa_float_round_mode_16_64 0
		.amdhsa_float_denorm_mode_32 3
		.amdhsa_float_denorm_mode_16_64 3
		.amdhsa_dx10_clamp 1
		.amdhsa_ieee_mode 1
		.amdhsa_fp16_overflow 0
		.amdhsa_workgroup_processor_mode 1
		.amdhsa_memory_ordered 1
		.amdhsa_forward_progress 0
		.amdhsa_shared_vgpr_count 0
		.amdhsa_exception_fp_ieee_invalid_op 0
		.amdhsa_exception_fp_denorm_src 0
		.amdhsa_exception_fp_ieee_div_zero 0
		.amdhsa_exception_fp_ieee_overflow 0
		.amdhsa_exception_fp_ieee_underflow 0
		.amdhsa_exception_fp_ieee_inexact 0
		.amdhsa_exception_int_div_zero 0
	.end_amdhsa_kernel
	.text
.Lfunc_end0:
	.size	bluestein_single_back_len1296_dim1_sp_op_CI_CI, .Lfunc_end0-bluestein_single_back_len1296_dim1_sp_op_CI_CI
                                        ; -- End function
	.section	.AMDGPU.csdata,"",@progbits
; Kernel info:
; codeLenInByte = 9616
; NumSgprs: 22
; NumVgprs: 140
; ScratchSize: 0
; MemoryBound: 0
; FloatMode: 240
; IeeeMode: 1
; LDSByteSize: 10368 bytes/workgroup (compile time only)
; SGPRBlocks: 2
; VGPRBlocks: 17
; NumSGPRsForWavesPerEU: 22
; NumVGPRsForWavesPerEU: 140
; Occupancy: 7
; WaveLimiterHint : 1
; COMPUTE_PGM_RSRC2:SCRATCH_EN: 0
; COMPUTE_PGM_RSRC2:USER_SGPR: 6
; COMPUTE_PGM_RSRC2:TRAP_HANDLER: 0
; COMPUTE_PGM_RSRC2:TGID_X_EN: 1
; COMPUTE_PGM_RSRC2:TGID_Y_EN: 0
; COMPUTE_PGM_RSRC2:TGID_Z_EN: 0
; COMPUTE_PGM_RSRC2:TIDIG_COMP_CNT: 0
	.text
	.p2alignl 6, 3214868480
	.fill 48, 4, 3214868480
	.type	__hip_cuid_4ecb73b3609fc32a,@object ; @__hip_cuid_4ecb73b3609fc32a
	.section	.bss,"aw",@nobits
	.globl	__hip_cuid_4ecb73b3609fc32a
__hip_cuid_4ecb73b3609fc32a:
	.byte	0                               ; 0x0
	.size	__hip_cuid_4ecb73b3609fc32a, 1

	.ident	"AMD clang version 19.0.0git (https://github.com/RadeonOpenCompute/llvm-project roc-6.4.0 25133 c7fe45cf4b819c5991fe208aaa96edf142730f1d)"
	.section	".note.GNU-stack","",@progbits
	.addrsig
	.addrsig_sym __hip_cuid_4ecb73b3609fc32a
	.amdgpu_metadata
---
amdhsa.kernels:
  - .args:
      - .actual_access:  read_only
        .address_space:  global
        .offset:         0
        .size:           8
        .value_kind:     global_buffer
      - .actual_access:  read_only
        .address_space:  global
        .offset:         8
        .size:           8
        .value_kind:     global_buffer
      - .actual_access:  read_only
        .address_space:  global
        .offset:         16
        .size:           8
        .value_kind:     global_buffer
      - .actual_access:  read_only
        .address_space:  global
        .offset:         24
        .size:           8
        .value_kind:     global_buffer
      - .actual_access:  read_only
        .address_space:  global
        .offset:         32
        .size:           8
        .value_kind:     global_buffer
      - .offset:         40
        .size:           8
        .value_kind:     by_value
      - .address_space:  global
        .offset:         48
        .size:           8
        .value_kind:     global_buffer
      - .address_space:  global
        .offset:         56
        .size:           8
        .value_kind:     global_buffer
      - .address_space:  global
        .offset:         64
        .size:           8
        .value_kind:     global_buffer
      - .address_space:  global
        .offset:         72
        .size:           8
        .value_kind:     global_buffer
      - .offset:         80
        .size:           4
        .value_kind:     by_value
      - .address_space:  global
        .offset:         88
        .size:           8
        .value_kind:     global_buffer
      - .address_space:  global
        .offset:         96
        .size:           8
        .value_kind:     global_buffer
    .group_segment_fixed_size: 10368
    .kernarg_segment_align: 8
    .kernarg_segment_size: 104
    .language:       OpenCL C
    .language_version:
      - 2
      - 0
    .max_flat_workgroup_size: 108
    .name:           bluestein_single_back_len1296_dim1_sp_op_CI_CI
    .private_segment_fixed_size: 0
    .sgpr_count:     22
    .sgpr_spill_count: 0
    .symbol:         bluestein_single_back_len1296_dim1_sp_op_CI_CI.kd
    .uniform_work_group_size: 1
    .uses_dynamic_stack: false
    .vgpr_count:     140
    .vgpr_spill_count: 0
    .wavefront_size: 32
    .workgroup_processor_mode: 1
amdhsa.target:   amdgcn-amd-amdhsa--gfx1030
amdhsa.version:
  - 1
  - 2
...

	.end_amdgpu_metadata
